;; amdgpu-corpus repo=ROCm/rocFFT kind=compiled arch=gfx906 opt=O3
	.text
	.amdgcn_target "amdgcn-amd-amdhsa--gfx906"
	.amdhsa_code_object_version 6
	.protected	fft_rtc_back_len208_factors_13_16_wgs_144_tpt_16_sp_op_CI_CI_sbcc_dirReg ; -- Begin function fft_rtc_back_len208_factors_13_16_wgs_144_tpt_16_sp_op_CI_CI_sbcc_dirReg
	.globl	fft_rtc_back_len208_factors_13_16_wgs_144_tpt_16_sp_op_CI_CI_sbcc_dirReg
	.p2align	8
	.type	fft_rtc_back_len208_factors_13_16_wgs_144_tpt_16_sp_op_CI_CI_sbcc_dirReg,@function
fft_rtc_back_len208_factors_13_16_wgs_144_tpt_16_sp_op_CI_CI_sbcc_dirReg: ; @fft_rtc_back_len208_factors_13_16_wgs_144_tpt_16_sp_op_CI_CI_sbcc_dirReg
; %bb.0:
	s_load_dwordx4 s[20:23], s[4:5], 0x18
	s_load_dwordx2 s[2:3], s[4:5], 0x28
	s_mov_b32 s7, 0
	s_mov_b64 s[26:27], 0
	s_waitcnt lgkmcnt(0)
	s_load_dwordx2 s[28:29], s[20:21], 0x8
	s_waitcnt lgkmcnt(0)
	s_add_u32 s0, s28, -1
	s_addc_u32 s1, s29, -1
	s_add_u32 s8, 0, 0x71c4fc00
	s_addc_u32 s9, 0, 0x7c
	s_mul_hi_u32 s11, s8, -9
	s_add_i32 s9, s9, 0x1c71c6a0
	s_sub_i32 s11, s11, s8
	s_mul_i32 s14, s9, -9
	s_mul_i32 s10, s8, -9
	s_add_i32 s11, s11, s14
	s_mul_hi_u32 s12, s9, s10
	s_mul_i32 s13, s9, s10
	s_mul_i32 s15, s8, s11
	s_mul_hi_u32 s10, s8, s10
	s_mul_hi_u32 s14, s8, s11
	s_add_u32 s10, s10, s15
	s_addc_u32 s14, 0, s14
	s_add_u32 s10, s10, s13
	s_mul_hi_u32 s15, s9, s11
	s_addc_u32 s10, s14, s12
	s_addc_u32 s12, s15, 0
	s_mul_i32 s11, s9, s11
	s_add_u32 s10, s10, s11
	v_mov_b32_e32 v1, s10
	s_addc_u32 s11, 0, s12
	v_add_co_u32_e32 v1, vcc, s8, v1
	s_cmp_lg_u64 vcc, 0
	s_addc_u32 s8, s9, s11
	v_readfirstlane_b32 s11, v1
	s_mul_i32 s10, s0, s8
	s_mul_hi_u32 s12, s0, s11
	s_mul_hi_u32 s9, s0, s8
	s_add_u32 s10, s12, s10
	s_addc_u32 s9, 0, s9
	s_mul_hi_u32 s13, s1, s11
	s_mul_i32 s11, s1, s11
	s_add_u32 s10, s10, s11
	s_mul_hi_u32 s12, s1, s8
	s_addc_u32 s9, s9, s13
	s_addc_u32 s10, s12, 0
	s_mul_i32 s8, s1, s8
	s_add_u32 s8, s9, s8
	s_addc_u32 s9, 0, s10
	s_add_u32 s10, s8, 1
	s_addc_u32 s11, s9, 0
	s_add_u32 s12, s8, 2
	s_mul_i32 s14, s9, 9
	s_mul_hi_u32 s15, s8, 9
	s_addc_u32 s13, s9, 0
	s_add_i32 s15, s15, s14
	s_mul_i32 s14, s8, 9
	v_mov_b32_e32 v1, s14
	v_sub_co_u32_e32 v1, vcc, s0, v1
	s_cmp_lg_u64 vcc, 0
	s_subb_u32 s0, s1, s15
	v_subrev_co_u32_e32 v2, vcc, 9, v1
	s_cmp_lg_u64 vcc, 0
	s_subb_u32 s1, s0, 0
	v_readfirstlane_b32 s14, v2
	s_cmp_gt_u32 s14, 8
	s_cselect_b32 s14, -1, 0
	s_cmp_eq_u32 s1, 0
	s_cselect_b32 s1, s14, -1
	s_cmp_lg_u32 s1, 0
	s_cselect_b32 s1, s12, s10
	s_cselect_b32 s10, s13, s11
	v_readfirstlane_b32 s11, v1
	s_cmp_gt_u32 s11, 8
	s_cselect_b32 s11, -1, 0
	s_cmp_eq_u32 s0, 0
	s_cselect_b32 s0, s11, -1
	s_cmp_lg_u32 s0, 0
	s_cselect_b32 s1, s1, s8
	s_cselect_b32 s0, s10, s9
	s_add_u32 s30, s1, 1
	s_addc_u32 s31, s0, 0
	v_mov_b32_e32 v1, s30
	v_mov_b32_e32 v2, s31
	v_cmp_lt_u64_e32 vcc, s[6:7], v[1:2]
	s_cbranch_vccnz .LBB0_2
; %bb.1:
	v_cvt_f32_u32_e32 v1, s30
	s_sub_i32 s0, 0, s30
	s_mov_b32 s27, s7
	v_rcp_iflag_f32_e32 v1, v1
	v_mul_f32_e32 v1, 0x4f7ffffe, v1
	v_cvt_u32_f32_e32 v1, v1
	v_readfirstlane_b32 s1, v1
	s_mul_i32 s0, s0, s1
	s_mul_hi_u32 s0, s1, s0
	s_add_i32 s1, s1, s0
	s_mul_hi_u32 s0, s6, s1
	s_mul_i32 s8, s0, s30
	s_sub_i32 s8, s6, s8
	s_add_i32 s1, s0, 1
	s_sub_i32 s9, s8, s30
	s_cmp_ge_u32 s8, s30
	s_cselect_b32 s0, s1, s0
	s_cselect_b32 s8, s9, s8
	s_add_i32 s1, s0, 1
	s_cmp_ge_u32 s8, s30
	s_cselect_b32 s26, s1, s0
.LBB0_2:
	s_mul_i32 s0, s26, s31
	s_mul_hi_u32 s1, s26, s30
	s_add_i32 s1, s1, s0
	s_mul_i32 s0, s26, s30
	s_sub_u32 s50, s6, s0
	s_subb_u32 s0, 0, s1
	s_load_dwordx4 s[12:15], s[4:5], 0x60
	s_load_dwordx4 s[16:19], s[22:23], 0x0
	;; [unrolled: 1-line block ×3, first 2 shown]
	s_load_dwordx2 s[24:25], s[4:5], 0x0
	s_load_dwordx2 s[34:35], s[4:5], 0x10
	s_mul_i32 s0, s0, 9
	s_mul_hi_u32 s49, s50, 9
	s_add_i32 s49, s49, s0
	s_mul_i32 s50, s50, 9
	s_waitcnt lgkmcnt(0)
	s_mul_i32 s0, s18, s49
	s_mul_hi_u32 s1, s18, s50
	s_add_i32 s0, s1, s0
	s_mul_i32 s1, s19, s50
	s_add_i32 s5, s0, s1
	s_mul_i32 s0, s10, s49
	s_mul_hi_u32 s1, s10, s50
	s_add_i32 s0, s1, s0
	s_mul_i32 s1, s11, s50
	s_add_i32 s33, s0, s1
	v_cmp_lt_u64_e64 s[0:1], s[34:35], 3
	s_mul_i32 s4, s18, s50
	s_mul_i32 s48, s10, s50
	s_and_b64 vcc, exec, s[0:1]
	s_cbranch_vccnz .LBB0_12
; %bb.3:
	s_add_u32 s36, s2, 16
	s_addc_u32 s37, s3, 0
	s_add_u32 s38, s22, 16
	s_addc_u32 s39, s23, 0
	s_add_u32 s20, s20, 16
	v_mov_b32_e32 v1, s34
	s_addc_u32 s21, s21, 0
	s_mov_b64 s[40:41], 2
	s_mov_b32 s42, 0
	v_mov_b32_e32 v2, s35
.LBB0_4:                                ; =>This Inner Loop Header: Depth=1
	s_load_dwordx2 s[44:45], s[20:21], 0x0
	s_waitcnt lgkmcnt(0)
	s_or_b64 s[0:1], s[26:27], s[44:45]
	s_mov_b32 s43, s1
	s_cmp_lg_u64 s[42:43], 0
	s_cbranch_scc0 .LBB0_9
; %bb.5:                                ;   in Loop: Header=BB0_4 Depth=1
	v_cvt_f32_u32_e32 v3, s44
	v_cvt_f32_u32_e32 v4, s45
	s_sub_u32 s0, 0, s44
	s_subb_u32 s1, 0, s45
	v_mac_f32_e32 v3, 0x4f800000, v4
	v_rcp_f32_e32 v3, v3
	v_mul_f32_e32 v3, 0x5f7ffffc, v3
	v_mul_f32_e32 v4, 0x2f800000, v3
	v_trunc_f32_e32 v4, v4
	v_mac_f32_e32 v3, 0xcf800000, v4
	v_cvt_u32_f32_e32 v4, v4
	v_cvt_u32_f32_e32 v3, v3
	v_readfirstlane_b32 s43, v4
	v_readfirstlane_b32 s46, v3
	s_mul_i32 s47, s0, s43
	s_mul_hi_u32 s52, s0, s46
	s_mul_i32 s51, s1, s46
	s_add_i32 s47, s52, s47
	s_mul_i32 s53, s0, s46
	s_add_i32 s47, s47, s51
	s_mul_hi_u32 s51, s46, s47
	s_mul_i32 s52, s46, s47
	s_mul_hi_u32 s46, s46, s53
	s_add_u32 s46, s46, s52
	s_addc_u32 s51, 0, s51
	s_mul_hi_u32 s54, s43, s53
	s_mul_i32 s53, s43, s53
	s_add_u32 s46, s46, s53
	s_mul_hi_u32 s52, s43, s47
	s_addc_u32 s46, s51, s54
	s_addc_u32 s51, s52, 0
	s_mul_i32 s47, s43, s47
	s_add_u32 s46, s46, s47
	s_addc_u32 s47, 0, s51
	v_add_co_u32_e32 v3, vcc, s46, v3
	s_cmp_lg_u64 vcc, 0
	s_addc_u32 s43, s43, s47
	v_readfirstlane_b32 s47, v3
	s_mul_i32 s46, s0, s43
	s_mul_hi_u32 s51, s0, s47
	s_add_i32 s46, s51, s46
	s_mul_i32 s1, s1, s47
	s_add_i32 s46, s46, s1
	s_mul_i32 s0, s0, s47
	s_mul_hi_u32 s51, s43, s0
	s_mul_i32 s52, s43, s0
	s_mul_i32 s54, s47, s46
	s_mul_hi_u32 s0, s47, s0
	s_mul_hi_u32 s53, s47, s46
	s_add_u32 s0, s0, s54
	s_addc_u32 s47, 0, s53
	s_add_u32 s0, s0, s52
	s_mul_hi_u32 s1, s43, s46
	s_addc_u32 s0, s47, s51
	s_addc_u32 s1, s1, 0
	s_mul_i32 s46, s43, s46
	s_add_u32 s0, s0, s46
	s_addc_u32 s1, 0, s1
	v_add_co_u32_e32 v3, vcc, s0, v3
	s_cmp_lg_u64 vcc, 0
	s_addc_u32 s0, s43, s1
	v_readfirstlane_b32 s46, v3
	s_mul_i32 s43, s26, s0
	s_mul_hi_u32 s47, s26, s46
	s_mul_hi_u32 s1, s26, s0
	s_add_u32 s43, s47, s43
	s_addc_u32 s1, 0, s1
	s_mul_hi_u32 s51, s27, s46
	s_mul_i32 s46, s27, s46
	s_add_u32 s43, s43, s46
	s_mul_hi_u32 s47, s27, s0
	s_addc_u32 s1, s1, s51
	s_addc_u32 s43, s47, 0
	s_mul_i32 s0, s27, s0
	s_add_u32 s46, s1, s0
	s_addc_u32 s43, 0, s43
	s_mul_i32 s0, s44, s43
	s_mul_hi_u32 s1, s44, s46
	s_add_i32 s0, s1, s0
	s_mul_i32 s1, s45, s46
	s_add_i32 s47, s0, s1
	s_mul_i32 s1, s44, s46
	v_mov_b32_e32 v3, s1
	s_sub_i32 s0, s27, s47
	v_sub_co_u32_e32 v3, vcc, s26, v3
	s_cmp_lg_u64 vcc, 0
	s_subb_u32 s51, s0, s45
	v_subrev_co_u32_e64 v4, s[0:1], s44, v3
	s_cmp_lg_u64 s[0:1], 0
	s_subb_u32 s0, s51, 0
	s_cmp_ge_u32 s0, s45
	v_readfirstlane_b32 s51, v4
	s_cselect_b32 s1, -1, 0
	s_cmp_ge_u32 s51, s44
	s_cselect_b32 s51, -1, 0
	s_cmp_eq_u32 s0, s45
	s_cselect_b32 s0, s51, s1
	s_add_u32 s1, s46, 1
	s_addc_u32 s51, s43, 0
	s_add_u32 s52, s46, 2
	s_addc_u32 s53, s43, 0
	s_cmp_lg_u32 s0, 0
	s_cselect_b32 s0, s52, s1
	s_cselect_b32 s1, s53, s51
	s_cmp_lg_u64 vcc, 0
	s_subb_u32 s47, s27, s47
	s_cmp_ge_u32 s47, s45
	v_readfirstlane_b32 s52, v3
	s_cselect_b32 s51, -1, 0
	s_cmp_ge_u32 s52, s44
	s_cselect_b32 s52, -1, 0
	s_cmp_eq_u32 s47, s45
	s_cselect_b32 s47, s52, s51
	s_cmp_lg_u32 s47, 0
	s_cselect_b32 s1, s1, s43
	s_cselect_b32 s0, s0, s46
	s_cbranch_execnz .LBB0_7
.LBB0_6:                                ;   in Loop: Header=BB0_4 Depth=1
	v_cvt_f32_u32_e32 v3, s44
	s_sub_i32 s0, 0, s44
	v_rcp_iflag_f32_e32 v3, v3
	v_mul_f32_e32 v3, 0x4f7ffffe, v3
	v_cvt_u32_f32_e32 v3, v3
	v_readfirstlane_b32 s1, v3
	s_mul_i32 s0, s0, s1
	s_mul_hi_u32 s0, s1, s0
	s_add_i32 s1, s1, s0
	s_mul_hi_u32 s0, s26, s1
	s_mul_i32 s43, s0, s44
	s_sub_i32 s43, s26, s43
	s_add_i32 s1, s0, 1
	s_sub_i32 s46, s43, s44
	s_cmp_ge_u32 s43, s44
	s_cselect_b32 s0, s1, s0
	s_cselect_b32 s43, s46, s43
	s_add_i32 s1, s0, 1
	s_cmp_ge_u32 s43, s44
	s_cselect_b32 s0, s1, s0
	s_mov_b32 s1, s42
.LBB0_7:                                ;   in Loop: Header=BB0_4 Depth=1
	s_mul_i32 s31, s44, s31
	s_mul_hi_u32 s43, s44, s30
	s_add_i32 s31, s43, s31
	s_mul_i32 s43, s45, s30
	s_add_i32 s31, s31, s43
	s_mul_i32 s43, s0, s45
	s_mul_hi_u32 s45, s0, s44
	s_load_dwordx2 s[46:47], s[38:39], 0x0
	s_add_i32 s43, s45, s43
	s_mul_i32 s45, s1, s44
	s_mul_i32 s30, s44, s30
	s_add_i32 s43, s43, s45
	s_mul_i32 s44, s0, s44
	s_sub_u32 s44, s26, s44
	s_subb_u32 s43, s27, s43
	s_waitcnt lgkmcnt(0)
	s_mul_i32 s26, s46, s43
	s_mul_hi_u32 s27, s46, s44
	s_add_i32 s45, s27, s26
	s_load_dwordx2 s[26:27], s[36:37], 0x0
	s_mul_i32 s47, s47, s44
	s_add_i32 s45, s45, s47
	s_mul_i32 s46, s46, s44
	s_add_u32 s4, s46, s4
	s_addc_u32 s5, s45, s5
	s_waitcnt lgkmcnt(0)
	s_mul_i32 s43, s26, s43
	s_mul_hi_u32 s45, s26, s44
	s_add_i32 s43, s45, s43
	s_mul_i32 s27, s27, s44
	s_add_i32 s43, s43, s27
	s_mul_i32 s26, s26, s44
	s_add_u32 s48, s26, s48
	s_addc_u32 s33, s43, s33
	s_add_u32 s40, s40, 1
	s_addc_u32 s41, s41, 0
	;; [unrolled: 2-line block ×4, first 2 shown]
	v_cmp_ge_u64_e32 vcc, s[40:41], v[1:2]
	s_add_u32 s20, s20, 8
	s_addc_u32 s21, s21, 0
	s_cbranch_vccnz .LBB0_10
; %bb.8:                                ;   in Loop: Header=BB0_4 Depth=1
	s_mov_b64 s[26:27], s[0:1]
	s_branch .LBB0_4
.LBB0_9:                                ;   in Loop: Header=BB0_4 Depth=1
                                        ; implicit-def: $sgpr0_sgpr1
	s_branch .LBB0_6
.LBB0_10:
	v_mov_b32_e32 v1, s30
	v_mov_b32_e32 v2, s31
	v_cmp_lt_u64_e32 vcc, s[6:7], v[1:2]
	s_mov_b64 s[26:27], 0
	s_cbranch_vccnz .LBB0_12
; %bb.11:
	v_cvt_f32_u32_e32 v1, s30
	s_sub_i32 s0, 0, s30
	v_rcp_iflag_f32_e32 v1, v1
	v_mul_f32_e32 v1, 0x4f7ffffe, v1
	v_cvt_u32_f32_e32 v1, v1
	v_readfirstlane_b32 s1, v1
	s_mul_i32 s0, s0, s1
	s_mul_hi_u32 s0, s1, s0
	s_add_i32 s1, s1, s0
	s_mul_hi_u32 s0, s6, s1
	s_mul_i32 s7, s0, s30
	s_sub_i32 s6, s6, s7
	s_add_i32 s1, s0, 1
	s_sub_i32 s7, s6, s30
	s_cmp_ge_u32 s6, s30
	s_cselect_b32 s0, s1, s0
	s_cselect_b32 s6, s7, s6
	s_add_i32 s1, s0, 1
	s_cmp_ge_u32 s6, s30
	s_cselect_b32 s26, s1, s0
.LBB0_12:
	v_mul_u32_u24_e32 v1, 0x1c72, v0
	s_lshl_b64 s[30:31], s[34:35], 3
	v_lshrrev_b32_e32 v33, 16, v1
	s_add_u32 s0, s2, s30
	v_mul_lo_u16_e32 v1, 9, v33
	s_addc_u32 s1, s3, s31
	v_sub_u16_e32 v34, v0, v1
	s_load_dwordx2 s[6:7], s[0:1], 0x0
	s_add_u32 s20, s50, 9
	v_mov_b32_e32 v1, s28
	v_mov_b32_e32 v4, s49
	v_add_co_u32_e32 v3, vcc, s50, v34
	s_addc_u32 s21, s49, 0
	v_mov_b32_e32 v2, s29
	v_addc_co_u32_e32 v4, vcc, 0, v4, vcc
	v_cmp_le_u64_e64 s[2:3], s[20:21], v[1:2]
	v_cmp_gt_u64_e64 s[0:1], s[28:29], v[3:4]
	v_cmp_gt_u64_e32 vcc, s[20:21], v[1:2]
	s_or_b64 s[28:29], s[2:3], s[0:1]
                                        ; implicit-def: $vgpr4
                                        ; implicit-def: $vgpr26
                                        ; implicit-def: $vgpr22
                                        ; implicit-def: $vgpr18
                                        ; implicit-def: $vgpr14
                                        ; implicit-def: $vgpr10
                                        ; implicit-def: $vgpr6
                                        ; implicit-def: $vgpr8
                                        ; implicit-def: $vgpr12
                                        ; implicit-def: $vgpr16
                                        ; implicit-def: $vgpr20
                                        ; implicit-def: $vgpr24
                                        ; implicit-def: $vgpr28
	s_and_saveexec_b64 s[20:21], s[28:29]
	s_cbranch_execz .LBB0_14
; %bb.13:
	s_add_u32 s22, s22, s30
	s_addc_u32 s23, s23, s31
	s_load_dwordx2 s[22:23], s[22:23], 0x0
	v_mad_u64_u32 v[1:2], s[28:29], s18, v34, 0
	v_mad_u64_u32 v[3:4], s[28:29], s16, v33, 0
	s_waitcnt lgkmcnt(0)
	s_mul_i32 s23, s23, s26
	s_mul_hi_u32 s27, s22, s26
	v_mad_u64_u32 v[5:6], s[18:19], s19, v34, v[2:3]
	v_mov_b32_e32 v2, v4
	v_mad_u64_u32 v[6:7], s[18:19], s17, v33, v[2:3]
	s_add_i32 s19, s27, s23
	s_mul_i32 s18, s22, s26
	s_lshl_b64 s[18:19], s[18:19], 3
	s_add_u32 s12, s12, s18
	s_addc_u32 s13, s13, s19
	s_lshl_b64 s[4:5], s[4:5], 3
	s_add_u32 s12, s12, s4
	s_addc_u32 s4, s13, s5
	v_add_u32_e32 v8, 16, v33
	v_mov_b32_e32 v2, v5
	v_mov_b32_e32 v4, v6
	;; [unrolled: 1-line block ×3, first 2 shown]
	v_mad_u64_u32 v[5:6], s[4:5], s16, v8, 0
	v_lshlrev_b64 v[1:2], 3, v[1:2]
	v_or_b32_e32 v9, 32, v33
	v_add_co_u32_e64 v11, s[4:5], s12, v1
	v_addc_co_u32_e64 v12, s[4:5], v7, v2, s[4:5]
	v_lshlrev_b64 v[1:2], 3, v[3:4]
	v_mov_b32_e32 v3, v6
	v_mad_u64_u32 v[3:4], s[4:5], s17, v8, v[3:4]
	v_mad_u64_u32 v[7:8], s[4:5], s16, v9, 0
	v_mov_b32_e32 v6, v3
	v_add_co_u32_e64 v1, s[4:5], v11, v1
	v_lshlrev_b64 v[3:4], 3, v[5:6]
	v_mov_b32_e32 v5, v8
	v_addc_co_u32_e64 v2, s[4:5], v12, v2, s[4:5]
	v_mad_u64_u32 v[5:6], s[4:5], s17, v9, v[5:6]
	v_add_u32_e32 v6, 48, v33
	v_mad_u64_u32 v[9:10], s[4:5], s16, v6, 0
	v_add_co_u32_e64 v29, s[4:5], v11, v3
	v_mov_b32_e32 v8, v5
	v_mov_b32_e32 v5, v10
	v_addc_co_u32_e64 v30, s[4:5], v12, v4, s[4:5]
	v_lshlrev_b64 v[3:4], 3, v[7:8]
	v_mad_u64_u32 v[5:6], s[4:5], s17, v6, v[5:6]
	v_or_b32_e32 v8, 64, v33
	v_mad_u64_u32 v[6:7], s[4:5], s16, v8, 0
	v_add_co_u32_e64 v31, s[4:5], v11, v3
	v_mov_b32_e32 v10, v5
	v_mov_b32_e32 v5, v7
	v_addc_co_u32_e64 v32, s[4:5], v12, v4, s[4:5]
	v_lshlrev_b64 v[3:4], 3, v[9:10]
	v_mad_u64_u32 v[7:8], s[4:5], s17, v8, v[5:6]
	v_add_u32_e32 v10, 0x50, v33
	v_mad_u64_u32 v[8:9], s[4:5], s16, v10, 0
	v_add_co_u32_e64 v35, s[4:5], v11, v3
	v_mov_b32_e32 v5, v9
	v_addc_co_u32_e64 v36, s[4:5], v12, v4, s[4:5]
	v_lshlrev_b64 v[3:4], 3, v[6:7]
	v_mad_u64_u32 v[5:6], s[4:5], s17, v10, v[5:6]
	v_or_b32_e32 v10, 0x60, v33
	v_mad_u64_u32 v[6:7], s[4:5], s16, v10, 0
	v_add_co_u32_e64 v37, s[4:5], v11, v3
	v_mov_b32_e32 v9, v5
	v_mov_b32_e32 v5, v7
	v_addc_co_u32_e64 v38, s[4:5], v12, v4, s[4:5]
	v_lshlrev_b64 v[3:4], 3, v[8:9]
	v_mad_u64_u32 v[7:8], s[4:5], s17, v10, v[5:6]
	v_add_u32_e32 v10, 0x70, v33
	v_mad_u64_u32 v[8:9], s[4:5], s16, v10, 0
	v_add_co_u32_e64 v39, s[4:5], v11, v3
	;; [unrolled: 15-line block ×4, first 2 shown]
	v_mov_b32_e32 v5, v9
	v_addc_co_u32_e64 v48, s[4:5], v12, v4, s[4:5]
	v_lshlrev_b64 v[3:4], 3, v[6:7]
	v_mad_u64_u32 v[5:6], s[4:5], s17, v10, v[5:6]
	v_or_b32_e32 v10, 0xc0, v33
	v_mad_u64_u32 v[6:7], s[4:5], s16, v10, 0
	v_add_co_u32_e64 v49, s[4:5], v11, v3
	v_mov_b32_e32 v9, v5
	v_mov_b32_e32 v5, v7
	v_addc_co_u32_e64 v50, s[4:5], v12, v4, s[4:5]
	v_lshlrev_b64 v[3:4], 3, v[8:9]
	v_mad_u64_u32 v[7:8], s[4:5], s17, v10, v[5:6]
	v_add_co_u32_e64 v51, s[4:5], v11, v3
	v_addc_co_u32_e64 v52, s[4:5], v12, v4, s[4:5]
	v_lshlrev_b64 v[3:4], 3, v[6:7]
	v_add_co_u32_e64 v53, s[4:5], v11, v3
	v_addc_co_u32_e64 v54, s[4:5], v12, v4, s[4:5]
	global_load_dwordx2 v[3:4], v[1:2], off
	global_load_dwordx2 v[25:26], v[29:30], off
	;; [unrolled: 1-line block ×13, first 2 shown]
.LBB0_14:
	s_or_b64 exec, exec, s[20:21]
	s_waitcnt vmcnt(11)
	v_add_f32_e32 v1, v3, v25
	v_add_f32_e32 v2, v4, v26
	s_waitcnt vmcnt(10)
	v_add_f32_e32 v1, v1, v21
	v_add_f32_e32 v2, v2, v22
	s_waitcnt vmcnt(9)
	v_add_f32_e32 v1, v1, v17
	v_add_f32_e32 v2, v2, v18
	s_waitcnt vmcnt(8)
	v_add_f32_e32 v1, v1, v13
	v_add_f32_e32 v2, v2, v14
	s_waitcnt vmcnt(7)
	v_add_f32_e32 v1, v1, v9
	v_add_f32_e32 v2, v2, v10
	s_waitcnt vmcnt(6)
	v_add_f32_e32 v1, v1, v5
	v_add_f32_e32 v2, v2, v6
	s_waitcnt vmcnt(5)
	v_add_f32_e32 v1, v1, v7
	v_add_f32_e32 v2, v2, v8
	s_waitcnt vmcnt(4)
	v_add_f32_e32 v1, v1, v11
	v_add_f32_e32 v2, v2, v12
	s_waitcnt vmcnt(3)
	v_add_f32_e32 v1, v1, v15
	s_waitcnt vmcnt(0)
	v_sub_f32_e32 v42, v26, v28
	v_add_f32_e32 v2, v2, v16
	v_add_f32_e32 v1, v1, v19
	;; [unrolled: 1-line block ×4, first 2 shown]
	v_sub_f32_e32 v31, v17, v19
	v_add_f32_e32 v36, v13, v15
	v_sub_f32_e32 v37, v13, v15
	v_add_f32_e32 v43, v9, v11
	;; [unrolled: 2-line block ×3, first 2 shown]
	v_sub_f32_e32 v7, v5, v7
	v_mul_f32_e32 v5, 0xbeedf032, v42
	v_mul_f32_e32 v9, 0xbf52af12, v42
	s_mov_b32 s12, 0x3df6dbef
	v_mul_f32_e32 v11, 0xbf7e222b, v42
	v_mul_f32_e32 v13, 0xbf6f5d39, v42
	;; [unrolled: 1-line block ×4, first 2 shown]
	v_add_f32_e32 v2, v2, v20
	v_add_f32_e32 v1, v1, v23
	;; [unrolled: 1-line block ×3, first 2 shown]
	v_sub_f32_e32 v41, v25, v27
	v_sub_f32_e32 v26, v22, v24
	v_add_f32_e32 v29, v18, v20
	v_sub_f32_e32 v32, v18, v20
	v_add_f32_e32 v35, v14, v16
	;; [unrolled: 2-line block ×4, first 2 shown]
	v_sub_f32_e32 v8, v6, v8
	s_mov_b32 s4, 0x3f62ad3f
	v_mov_b32_e32 v6, v5
	s_mov_b32 s5, 0x3f116cb1
	v_mov_b32_e32 v10, v9
	v_mov_b32_e32 v12, v11
	v_fma_f32 v11, v39, s12, -v11
	s_mov_b32 s13, 0xbeb58ec6
	v_mov_b32_e32 v14, v13
	s_mov_b32 s16, 0xbf3f9e67
	v_mov_b32_e32 v16, v15
	;; [unrolled: 2-line block ×3, first 2 shown]
	v_add_f32_e32 v2, v2, v24
	v_add_f32_e32 v1, v1, v27
	;; [unrolled: 1-line block ×3, first 2 shown]
	v_sub_f32_e32 v25, v21, v23
	v_fmac_f32_e32 v6, 0x3f62ad3f, v39
	v_fma_f32 v5, v39, s4, -v5
	v_fmac_f32_e32 v10, 0x3f116cb1, v39
	v_fma_f32 v9, v39, s5, -v9
	v_fmac_f32_e32 v12, 0x3df6dbef, v39
	v_fmac_f32_e32 v14, 0xbeb58ec6, v39
	v_fma_f32 v13, v39, s13, -v13
	v_fmac_f32_e32 v16, 0xbf3f9e67, v39
	v_fma_f32 v15, v39, s16, -v15
	;; [unrolled: 2-line block ×3, first 2 shown]
	v_mul_f32_e32 v19, 0xbeedf032, v41
	v_mul_f32_e32 v21, 0xbf52af12, v41
	;; [unrolled: 1-line block ×6, first 2 shown]
	v_add_f32_e32 v52, v3, v11
	v_mul_f32_e32 v11, 0xbf52af12, v26
	v_add_f32_e32 v2, v2, v28
	v_add_f32_e32 v28, v22, v24
	v_fma_f32 v20, v40, s4, -v19
	v_fmac_f32_e32 v19, 0x3f62ad3f, v40
	v_fma_f32 v22, v40, s5, -v21
	v_fmac_f32_e32 v21, 0x3f116cb1, v40
	v_fma_f32 v24, v40, s12, -v23
	v_fmac_f32_e32 v23, 0x3df6dbef, v40
	v_fma_f32 v42, v40, s13, -v39
	v_fmac_f32_e32 v39, 0xbeb58ec6, v40
	v_fma_f32 v50, v40, s16, -v49
	v_fmac_f32_e32 v49, 0xbf3f9e67, v40
	v_fma_f32 v51, v40, s17, -v41
	v_fmac_f32_e32 v41, 0xbf788fa5, v40
	v_add_f32_e32 v6, v3, v6
	v_add_f32_e32 v5, v3, v5
	;; [unrolled: 1-line block ×11, first 2 shown]
	v_mov_b32_e32 v3, v11
	v_fmac_f32_e32 v3, 0x3f116cb1, v27
	v_add_f32_e32 v3, v3, v6
	v_mul_f32_e32 v6, 0xbf7e222b, v32
	v_add_f32_e32 v20, v4, v20
	v_add_f32_e32 v19, v4, v19
	;; [unrolled: 1-line block ×12, first 2 shown]
	v_mov_b32_e32 v4, v6
	v_fmac_f32_e32 v4, 0x3df6dbef, v30
	v_mul_f32_e32 v12, 0xbf6f5d39, v38
	v_add_f32_e32 v3, v4, v3
	v_mov_b32_e32 v4, v12
	v_fmac_f32_e32 v4, 0xbeb58ec6, v36
	v_mul_f32_e32 v13, 0xbf29c268, v46
	v_add_f32_e32 v3, v4, v3
	;; [unrolled: 4-line block ×4, first 2 shown]
	v_fma_f32 v4, v28, s5, -v15
	v_mul_f32_e32 v16, 0xbf7e222b, v31
	v_fma_f32 v11, v27, s5, -v11
	v_fmac_f32_e32 v15, 0x3f116cb1, v28
	v_fma_f32 v17, v29, s12, -v16
	v_add_f32_e32 v5, v11, v5
	v_add_f32_e32 v11, v15, v19
	v_fma_f32 v6, v30, s12, -v6
	v_fmac_f32_e32 v16, 0x3df6dbef, v29
	v_add_f32_e32 v5, v6, v5
	v_add_f32_e32 v6, v16, v11
	v_fma_f32 v11, v36, s13, -v12
	v_add_f32_e32 v5, v11, v5
	v_fma_f32 v11, v43, s16, -v13
	;; [unrolled: 2-line block ×3, first 2 shown]
	v_add_f32_e32 v5, v11, v5
	v_mul_f32_e32 v11, 0xbf6f5d39, v26
	v_mov_b32_e32 v12, v11
	v_add_f32_e32 v4, v4, v20
	v_fmac_f32_e32 v12, 0xbeb58ec6, v27
	v_mul_f32_e32 v15, 0xbe750f2a, v32
	v_add_f32_e32 v4, v17, v4
	v_mul_f32_e32 v17, 0xbf6f5d39, v37
	v_add_f32_e32 v10, v12, v10
	v_mul_f32_e32 v12, 0xbf6f5d39, v25
	v_mov_b32_e32 v14, v15
	v_fma_f32 v18, v35, s13, -v17
	v_fmac_f32_e32 v17, 0xbeb58ec6, v35
	v_fma_f32 v13, v28, s13, -v12
	v_fmac_f32_e32 v14, 0xbf788fa5, v30
	v_mul_f32_e32 v16, 0xbe750f2a, v31
	v_add_f32_e32 v4, v18, v4
	v_mul_f32_e32 v18, 0xbf29c268, v45
	v_add_f32_e32 v6, v17, v6
	v_add_f32_e32 v13, v13, v22
	;; [unrolled: 1-line block ×3, first 2 shown]
	v_fma_f32 v14, v29, s17, -v16
	v_mul_f32_e32 v17, 0x3f29c268, v38
	v_fma_f32 v20, v44, s16, -v18
	v_fmac_f32_e32 v18, 0xbf3f9e67, v44
	v_add_f32_e32 v13, v14, v13
	v_mov_b32_e32 v14, v17
	v_add_f32_e32 v6, v18, v6
	v_fmac_f32_e32 v14, 0xbf3f9e67, v36
	v_mul_f32_e32 v18, 0x3f29c268, v37
	v_add_f32_e32 v4, v20, v4
	v_mul_f32_e32 v20, 0xbe750f2a, v7
	v_add_f32_e32 v10, v14, v10
	v_fma_f32 v14, v35, s16, -v18
	v_mul_f32_e32 v19, 0x3f7e222b, v46
	v_fma_f32 v59, v48, s17, -v20
	v_fmac_f32_e32 v20, 0xbf788fa5, v48
	v_add_f32_e32 v13, v14, v13
	v_mov_b32_e32 v14, v19
	v_add_f32_e32 v6, v20, v6
	v_fmac_f32_e32 v14, 0x3df6dbef, v43
	v_mul_f32_e32 v20, 0x3f7e222b, v45
	v_add_f32_e32 v10, v14, v10
	v_fma_f32 v14, v44, s12, -v20
	v_mul_f32_e32 v22, 0x3eedf032, v8
	v_add_f32_e32 v14, v14, v13
	v_mov_b32_e32 v13, v22
	v_fmac_f32_e32 v13, 0x3f62ad3f, v47
	v_add_f32_e32 v13, v13, v10
	v_fma_f32 v10, v27, s13, -v11
	v_add_f32_e32 v9, v10, v9
	v_fmac_f32_e32 v12, 0xbeb58ec6, v28
	v_fma_f32 v11, v30, s17, -v15
	v_add_f32_e32 v10, v12, v21
	v_add_f32_e32 v9, v11, v9
	v_fmac_f32_e32 v16, 0xbf788fa5, v29
	v_fma_f32 v11, v36, s16, -v17
	v_add_f32_e32 v10, v16, v10
	;; [unrolled: 4-line block ×3, first 2 shown]
	v_mul_f32_e32 v59, 0x3eedf032, v7
	v_add_f32_e32 v10, v18, v10
	v_add_f32_e32 v9, v11, v9
	v_fmac_f32_e32 v20, 0x3df6dbef, v44
	v_fma_f32 v11, v47, s4, -v22
	v_fma_f32 v60, v48, s4, -v59
	v_add_f32_e32 v10, v20, v10
	v_fmac_f32_e32 v59, 0x3f62ad3f, v48
	v_add_f32_e32 v11, v11, v9
	v_mul_f32_e32 v9, 0xbe750f2a, v26
	v_add_f32_e32 v12, v59, v10
	v_mov_b32_e32 v10, v9
	v_mul_f32_e32 v17, 0x3f6f5d39, v32
	v_fmac_f32_e32 v10, 0xbf788fa5, v27
	v_mov_b32_e32 v15, v17
	v_add_f32_e32 v10, v10, v40
	v_fmac_f32_e32 v15, 0xbeb58ec6, v30
	v_mul_f32_e32 v18, 0x3eedf032, v38
	v_add_f32_e32 v10, v15, v10
	v_mov_b32_e32 v15, v18
	v_fmac_f32_e32 v15, 0x3f62ad3f, v36
	v_mul_f32_e32 v19, 0xbf52af12, v46
	v_add_f32_e32 v10, v15, v10
	v_mov_b32_e32 v15, v19
	;; [unrolled: 4-line block ×3, first 2 shown]
	v_fmac_f32_e32 v15, 0xbf3f9e67, v47
	v_add_f32_e32 v15, v15, v10
	v_mul_f32_e32 v10, 0xbe750f2a, v25
	v_fma_f32 v9, v27, s17, -v9
	v_fma_f32 v16, v28, s17, -v10
	v_mul_f32_e32 v21, 0x3f6f5d39, v31
	v_add_f32_e32 v9, v9, v52
	v_fma_f32 v17, v30, s13, -v17
	v_add_f32_e32 v16, v16, v24
	v_fma_f32 v22, v29, s13, -v21
	;; [unrolled: 2-line block ×3, first 2 shown]
	v_add_f32_e32 v16, v22, v16
	v_mul_f32_e32 v22, 0x3eedf032, v37
	v_add_f32_e32 v9, v17, v9
	v_fma_f32 v17, v43, s5, -v19
	v_fma_f32 v24, v35, s4, -v22
	v_add_f32_e32 v9, v17, v9
	v_fma_f32 v17, v47, s16, -v20
	v_fmac_f32_e32 v10, 0xbf788fa5, v28
	v_add_f32_e32 v16, v24, v16
	v_mul_f32_e32 v24, 0xbf52af12, v45
	v_add_f32_e32 v9, v17, v9
	v_add_f32_e32 v10, v10, v23
	v_fmac_f32_e32 v21, 0xbeb58ec6, v29
	v_mul_f32_e32 v17, 0x3f29c268, v26
	v_fma_f32 v40, v44, s5, -v24
	v_add_f32_e32 v10, v21, v10
	v_fmac_f32_e32 v22, 0x3f62ad3f, v35
	v_mov_b32_e32 v18, v17
	v_mul_f32_e32 v23, 0x3eedf032, v32
	v_add_f32_e32 v16, v40, v16
	v_mul_f32_e32 v40, 0xbf29c268, v7
	v_add_f32_e32 v10, v22, v10
	v_fmac_f32_e32 v24, 0x3f116cb1, v44
	v_fmac_f32_e32 v18, 0xbf3f9e67, v27
	v_mul_f32_e32 v19, 0x3f29c268, v25
	v_mov_b32_e32 v21, v23
	v_fma_f32 v59, v48, s16, -v40
	v_add_f32_e32 v10, v24, v10
	v_fmac_f32_e32 v40, 0xbf3f9e67, v48
	v_add_f32_e32 v18, v18, v53
	v_fma_f32 v20, v28, s16, -v19
	v_fmac_f32_e32 v21, 0x3f62ad3f, v30
	v_mul_f32_e32 v24, 0x3eedf032, v31
	v_add_f32_e32 v10, v40, v10
	v_add_f32_e32 v20, v20, v42
	;; [unrolled: 1-line block ×3, first 2 shown]
	v_fma_f32 v21, v29, s4, -v24
	v_mul_f32_e32 v40, 0xbf7e222b, v38
	v_add_f32_e32 v20, v21, v20
	v_mov_b32_e32 v21, v40
	v_fmac_f32_e32 v21, 0x3df6dbef, v36
	v_mul_f32_e32 v42, 0xbf7e222b, v37
	v_add_f32_e32 v18, v21, v18
	v_fma_f32 v21, v35, s12, -v42
	v_mul_f32_e32 v52, 0x3e750f2a, v46
	v_add_f32_e32 v20, v21, v20
	v_mov_b32_e32 v21, v52
	v_fmac_f32_e32 v21, 0xbf788fa5, v43
	v_mul_f32_e32 v53, 0x3e750f2a, v45
	v_add_f32_e32 v16, v59, v16
	v_add_f32_e32 v18, v21, v18
	v_fma_f32 v21, v44, s17, -v53
	v_mul_f32_e32 v59, 0x3f52af12, v8
	v_add_f32_e32 v20, v21, v20
	v_mov_b32_e32 v21, v59
	v_fmac_f32_e32 v21, 0x3f116cb1, v47
	v_fma_f32 v17, v27, s16, -v17
	v_fmac_f32_e32 v19, 0xbf3f9e67, v28
	v_add_f32_e32 v21, v21, v18
	v_add_f32_e32 v17, v17, v54
	;; [unrolled: 1-line block ×3, first 2 shown]
	v_fma_f32 v19, v30, s4, -v23
	v_add_f32_e32 v17, v19, v17
	v_fmac_f32_e32 v24, 0x3f62ad3f, v29
	v_fma_f32 v19, v36, s12, -v40
	v_add_f32_e32 v18, v24, v18
	v_add_f32_e32 v17, v19, v17
	v_fmac_f32_e32 v42, 0x3df6dbef, v35
	v_fma_f32 v19, v43, s17, -v52
	v_add_f32_e32 v14, v60, v14
	v_mul_f32_e32 v60, 0x3f52af12, v7
	v_add_f32_e32 v18, v42, v18
	v_add_f32_e32 v17, v19, v17
	v_fmac_f32_e32 v53, 0xbf788fa5, v44
	v_fma_f32 v19, v47, s5, -v59
	v_fma_f32 v22, v48, s5, -v60
	v_add_f32_e32 v18, v53, v18
	v_fmac_f32_e32 v60, 0x3f116cb1, v48
	v_add_f32_e32 v19, v19, v17
	v_mul_f32_e32 v17, 0x3f7e222b, v26
	v_add_f32_e32 v22, v22, v20
	v_add_f32_e32 v20, v60, v18
	v_mov_b32_e32 v18, v17
	v_mul_f32_e32 v39, 0xbf52af12, v32
	v_fmac_f32_e32 v18, 0x3df6dbef, v27
	v_mov_b32_e32 v23, v39
	v_add_f32_e32 v18, v18, v55
	v_fmac_f32_e32 v23, 0x3f116cb1, v30
	v_mul_f32_e32 v40, 0x3e750f2a, v38
	v_add_f32_e32 v18, v23, v18
	v_mov_b32_e32 v23, v40
	v_fma_f32 v17, v27, s12, -v17
	v_fmac_f32_e32 v23, 0xbf788fa5, v36
	v_mul_f32_e32 v42, 0x3eedf032, v46
	v_add_f32_e32 v17, v17, v56
	v_fma_f32 v39, v30, s5, -v39
	v_add_f32_e32 v18, v23, v18
	v_mov_b32_e32 v23, v42
	v_add_f32_e32 v17, v39, v17
	v_fma_f32 v39, v36, s17, -v40
	v_fmac_f32_e32 v23, 0x3f62ad3f, v43
	v_mul_f32_e32 v52, 0xbf6f5d39, v8
	v_add_f32_e32 v17, v39, v17
	v_fma_f32 v39, v43, s4, -v42
	v_add_f32_e32 v18, v23, v18
	v_mov_b32_e32 v23, v52
	v_add_f32_e32 v17, v39, v17
	v_fma_f32 v39, v47, s13, -v52
	v_fmac_f32_e32 v23, 0xbeb58ec6, v47
	v_add_f32_e32 v17, v39, v17
	v_mul_f32_e32 v39, 0x3eedf032, v26
	v_add_f32_e32 v23, v23, v18
	v_mul_f32_e32 v18, 0x3f7e222b, v25
	v_mov_b32_e32 v26, v39
	v_mul_f32_e32 v32, 0xbf29c268, v32
	v_fma_f32 v24, v28, s12, -v18
	v_fmac_f32_e32 v26, 0x3f62ad3f, v27
	v_mul_f32_e32 v40, 0x3eedf032, v25
	v_mov_b32_e32 v42, v32
	v_add_f32_e32 v24, v24, v50
	v_mul_f32_e32 v50, 0xbf52af12, v31
	v_add_f32_e32 v26, v26, v57
	v_fma_f32 v25, v28, s4, -v40
	v_fmac_f32_e32 v42, 0xbf3f9e67, v30
	v_mul_f32_e32 v31, 0xbf29c268, v31
	v_add_f32_e32 v25, v25, v51
	v_add_f32_e32 v26, v42, v26
	v_fma_f32 v42, v29, s16, -v31
	v_mul_f32_e32 v38, 0x3f52af12, v38
	v_fma_f32 v53, v29, s5, -v50
	v_add_f32_e32 v25, v42, v25
	v_mov_b32_e32 v42, v38
	v_add_f32_e32 v24, v53, v24
	v_mul_f32_e32 v53, 0x3e750f2a, v37
	v_fmac_f32_e32 v42, 0x3f116cb1, v36
	v_mul_f32_e32 v37, 0x3f52af12, v37
	v_add_f32_e32 v26, v42, v26
	v_fma_f32 v42, v35, s5, -v37
	v_add_f32_e32 v25, v42, v25
	v_mul_f32_e32 v42, 0xbf6f5d39, v46
	v_fma_f32 v27, v27, s4, -v39
	v_fma_f32 v54, v35, s17, -v53
	v_mov_b32_e32 v46, v42
	v_add_f32_e32 v27, v27, v58
	v_fma_f32 v30, v30, s16, -v32
	v_add_f32_e32 v24, v54, v24
	v_mul_f32_e32 v54, 0x3eedf032, v45
	v_fmac_f32_e32 v46, 0xbeb58ec6, v43
	v_mul_f32_e32 v45, 0xbf6f5d39, v45
	v_add_f32_e32 v27, v30, v27
	v_fma_f32 v30, v36, s5, -v38
	v_add_f32_e32 v26, v46, v26
	v_fma_f32 v46, v44, s13, -v45
	v_mul_f32_e32 v8, 0x3f7e222b, v8
	v_add_f32_e32 v27, v30, v27
	v_fma_f32 v30, v43, s13, -v42
	v_add_f32_e32 v46, v46, v25
	v_mov_b32_e32 v25, v8
	v_add_f32_e32 v27, v30, v27
	v_fma_f32 v8, v47, s12, -v8
	v_fmac_f32_e32 v40, 0x3f62ad3f, v28
	v_fmac_f32_e32 v18, 0x3df6dbef, v28
	v_add_f32_e32 v27, v8, v27
	v_add_f32_e32 v8, v40, v41
	v_fmac_f32_e32 v31, 0xbf3f9e67, v29
	v_fma_f32 v55, v44, s4, -v54
	v_add_f32_e32 v18, v18, v49
	v_fmac_f32_e32 v50, 0x3f116cb1, v29
	v_add_f32_e32 v8, v31, v8
	v_fmac_f32_e32 v37, 0x3f116cb1, v35
	v_add_f32_e32 v24, v55, v24
	v_mul_f32_e32 v55, 0xbf6f5d39, v7
	v_add_f32_e32 v18, v50, v18
	v_fmac_f32_e32 v53, 0xbf788fa5, v35
	v_mul_f32_e32 v7, 0x3f7e222b, v7
	v_add_f32_e32 v8, v37, v8
	v_fmac_f32_e32 v45, 0xbeb58ec6, v44
	v_add_f32_e32 v18, v53, v18
	v_fmac_f32_e32 v54, 0x3f62ad3f, v44
	v_fma_f32 v49, v48, s12, -v7
	v_add_f32_e32 v8, v45, v8
	v_fmac_f32_e32 v7, 0x3df6dbef, v48
	s_movk_i32 s4, 0x3a8
	v_fma_f32 v59, v48, s13, -v55
	v_add_f32_e32 v18, v54, v18
	v_fmac_f32_e32 v55, 0xbeb58ec6, v48
	v_fmac_f32_e32 v25, 0x3df6dbef, v47
	v_add_f32_e32 v28, v7, v8
	v_mad_u32_u24 v7, v33, s4, 0
	s_movk_i32 s4, 0x75
	v_add_f32_e32 v24, v59, v24
	v_add_f32_e32 v18, v55, v18
	;; [unrolled: 1-line block ×4, first 2 shown]
	v_lshl_add_u32 v8, v34, 3, v7
	v_cmp_gt_u32_e64 s[4:5], s4, v0
	ds_write2_b64 v8, v[1:2], v[3:4] offset1:9
	ds_write2_b64 v8, v[13:14], v[15:16] offset0:18 offset1:27
	ds_write2_b64 v8, v[21:22], v[23:24] offset0:36 offset1:45
	;; [unrolled: 1-line block ×5, first 2 shown]
	ds_write_b64 v8, v[5:6] offset:864
	s_waitcnt lgkmcnt(0)
	s_barrier
	s_waitcnt lgkmcnt(0)
                                        ; implicit-def: $vgpr30
	s_and_saveexec_b64 s[12:13], s[4:5]
	s_cbranch_execz .LBB0_16
; %bb.15:
	v_mul_i32_i24_e32 v0, 0xfffffca0, v33
	v_lshlrev_b32_e32 v1, 3, v34
	v_add3_u32 v0, v7, v0, v1
	v_add_u32_e32 v5, 0x400, v0
	ds_read2_b64 v[13:16], v5 offset0:106 offset1:223
	v_add_u32_e32 v5, 0xc00, v0
	ds_read2_b64 v[21:24], v5 offset0:84 offset1:201
	;; [unrolled: 2-line block ×4, first 2 shown]
	v_add_u32_e32 v5, 0x2400, v0
	ds_read2_b64 v[1:4], v0 offset1:117
	ds_read2_b64 v[9:12], v5 offset0:18 offset1:135
	v_add_u32_e32 v5, 0x2800, v0
	v_add_u32_e32 v0, 0x3000, v0
	ds_read2_b64 v[5:8], v5 offset0:124 offset1:241
	ds_read2_b64 v[29:32], v0 offset0:102 offset1:219
.LBB0_16:
	s_or_b64 exec, exec, s[12:13]
	v_mul_lo_u16_e32 v0, 20, v33
	v_mov_b32_e32 v35, 13
	v_mul_lo_u16_sdwa v0, v0, v35 dst_sel:DWORD dst_unused:UNUSED_PAD src0_sel:BYTE_1 src1_sel:DWORD
	v_sub_u16_e32 v0, v33, v0
	v_mul_lo_u16_e32 v0, 15, v0
	v_mov_b32_e32 v35, 3
	v_lshlrev_b32_sdwa v0, v35, v0 dst_sel:DWORD dst_unused:UNUSED_PAD src0_sel:DWORD src1_sel:BYTE_0
	global_load_dwordx4 v[35:38], v0, s[24:25]
	global_load_dwordx4 v[39:42], v0, s[24:25] offset:16
	global_load_dwordx4 v[43:46], v0, s[24:25] offset:32
	;; [unrolled: 1-line block ×4, first 2 shown]
	s_mul_i32 s7, s7, s26
	s_mul_hi_u32 s12, s6, s26
	s_mul_i32 s6, s6, s26
	s_add_i32 s12, s12, s7
	s_add_u32 s6, s6, s48
	s_addc_u32 s7, s12, s33
	s_and_b64 s[2:3], s[4:5], s[2:3]
	s_waitcnt vmcnt(4) lgkmcnt(3)
	v_mul_f32_e32 v55, v4, v36
	v_mul_f32_e32 v36, v3, v36
	v_fmac_f32_e32 v55, v3, v35
	s_waitcnt vmcnt(3)
	v_mul_f32_e32 v59, v16, v40
	v_mul_f32_e32 v3, v15, v40
	v_fmac_f32_e32 v59, v15, v39
	v_fma_f32 v39, v16, v39, -v3
	v_mul_f32_e32 v40, v22, v42
	v_mul_f32_e32 v3, v21, v42
	;; [unrolled: 1-line block ×4, first 2 shown]
	v_fmac_f32_e32 v40, v21, v41
	v_fma_f32 v21, v22, v41, -v3
	s_waitcnt vmcnt(2)
	v_mul_f32_e32 v22, v24, v44
	v_mul_f32_e32 v3, v23, v44
	v_fma_f32 v57, v4, v35, -v36
	v_fmac_f32_e32 v56, v13, v37
	v_fma_f32 v58, v14, v37, -v38
	global_load_dwordx4 v[35:38], v0, s[24:25] offset:80
	global_load_dwordx4 v[13:16], v0, s[24:25] offset:96
	v_fmac_f32_e32 v22, v23, v43
	v_fma_f32 v23, v24, v43, -v3
	global_load_dwordx2 v[3:4], v0, s[24:25] offset:112
	v_mul_f32_e32 v0, v26, v46
	v_mul_f32_e32 v24, v25, v46
	s_waitcnt vmcnt(4)
	v_mul_f32_e32 v41, v28, v48
	v_fmac_f32_e32 v0, v25, v45
	v_fma_f32 v24, v26, v45, -v24
	v_mul_f32_e32 v25, v27, v48
	v_mul_f32_e32 v26, v18, v50
	;; [unrolled: 1-line block ×3, first 2 shown]
	s_waitcnt vmcnt(3)
	v_mul_f32_e32 v43, v20, v52
	v_fmac_f32_e32 v41, v27, v47
	v_mul_f32_e32 v27, v19, v52
	v_fma_f32 v25, v28, v47, -v25
	s_waitcnt lgkmcnt(2)
	v_mul_f32_e32 v28, v10, v54
	v_fmac_f32_e32 v26, v17, v49
	v_fma_f32 v17, v18, v49, -v42
	v_fmac_f32_e32 v43, v19, v51
	v_fma_f32 v19, v20, v51, -v27
	v_mul_f32_e32 v44, v9, v54
	v_fmac_f32_e32 v28, v9, v53
	v_fma_f32 v9, v10, v53, -v44
	v_sub_f32_e32 v9, v58, v9
	v_sub_f32_e32 v19, v57, v19
	s_waitcnt vmcnt(2)
	v_mul_f32_e32 v45, v12, v36
	v_mul_f32_e32 v18, v11, v36
	s_waitcnt lgkmcnt(1)
	v_mul_f32_e32 v36, v6, v38
	v_mul_f32_e32 v38, v5, v38
	s_waitcnt vmcnt(1)
	v_mul_f32_e32 v42, v8, v14
	s_waitcnt lgkmcnt(0)
	v_mul_f32_e32 v20, v30, v16
	s_waitcnt vmcnt(0)
	v_mul_f32_e32 v27, v32, v4
	v_mul_f32_e32 v14, v7, v14
	v_mul_f32_e32 v16, v29, v16
	v_mul_f32_e32 v4, v31, v4
	v_fmac_f32_e32 v45, v11, v35
	v_fmac_f32_e32 v36, v5, v37
	v_fma_f32 v5, v6, v37, -v38
	v_fmac_f32_e32 v42, v7, v13
	v_fmac_f32_e32 v20, v29, v15
	;; [unrolled: 1-line block ×3, first 2 shown]
	v_fma_f32 v10, v12, v35, -v18
	v_fma_f32 v6, v8, v13, -v14
	v_fma_f32 v7, v30, v15, -v16
	v_fma_f32 v3, v32, v3, -v4
	v_sub_f32_e32 v4, v1, v26
	v_sub_f32_e32 v8, v2, v17
	;; [unrolled: 1-line block ×10, first 2 shown]
	v_fma_f32 v12, v40, 2.0, -v11
	v_fma_f32 v13, v21, 2.0, -v5
	v_sub_f32_e32 v7, v24, v7
	v_fma_f32 v21, v55, 2.0, -v20
	v_sub_f32_e32 v6, v23, v6
	;; [unrolled: 2-line block ×5, first 2 shown]
	v_fma_f32 v1, v1, 2.0, -v4
	v_fma_f32 v2, v2, 2.0, -v8
	;; [unrolled: 1-line block ×9, first 2 shown]
	v_add_f32_e32 v5, v4, v5
	v_fma_f32 v8, v8, 2.0, -v11
	v_sub_f32_e32 v17, v9, v17
	v_sub_f32_e32 v22, v21, v22
	;; [unrolled: 1-line block ×6, first 2 shown]
	v_fma_f32 v4, v4, 2.0, -v5
	v_sub_f32_e32 v18, v16, v18
	v_add_f32_e32 v7, v14, v7
	v_fma_f32 v9, v9, 2.0, -v17
	v_sub_f32_e32 v23, v24, v23
	v_fma_f32 v21, v21, 2.0, -v22
	v_add_f32_e32 v6, v20, v6
	v_fma_f32 v19, v19, 2.0, -v26
	v_sub_f32_e32 v25, v30, v25
	v_fma_f32 v29, v29, 2.0, -v31
	v_sub_f32_e32 v27, v10, v27
	v_mov_b32_e32 v36, v8
	v_mov_b32_e32 v40, v11
	v_fma_f32 v15, v56, 2.0, -v14
	v_fma_f32 v2, v2, 2.0, -v13
	;; [unrolled: 1-line block ×7, first 2 shown]
	v_add_f32_e32 v3, v28, v3
	v_fma_f32 v10, v10, 2.0, -v27
	v_mov_b32_e32 v35, v4
	v_fmac_f32_e32 v36, 0xbf3504f3, v9
	v_add_f32_e32 v37, v12, v18
	v_mov_b32_e32 v39, v5
	v_fmac_f32_e32 v40, 0x3f3504f3, v17
	v_sub_f32_e32 v18, v21, v29
	v_mov_b32_e32 v42, v19
	v_sub_f32_e32 v0, v15, v0
	v_fma_f32 v28, v28, 2.0, -v3
	v_sub_f32_e32 v16, v2, v16
	v_fmac_f32_e32 v35, 0xbf3504f3, v14
	v_fmac_f32_e32 v36, 0xbf3504f3, v14
	;; [unrolled: 1-line block ×4, first 2 shown]
	v_sub_f32_e32 v41, v24, v30
	v_fma_f32 v7, v21, 2.0, -v18
	v_mov_b32_e32 v21, v20
	v_fmac_f32_e32 v42, 0xbf3504f3, v10
	v_fma_f32 v1, v1, 2.0, -v12
	v_fma_f32 v15, v15, 2.0, -v0
	;; [unrolled: 1-line block ×3, first 2 shown]
	v_fmac_f32_e32 v35, 0x3f3504f3, v9
	v_fma_f32 v8, v8, 2.0, -v36
	v_sub_f32_e32 v38, v13, v0
	v_fmac_f32_e32 v39, 0x3f3504f3, v17
	v_fma_f32 v17, v11, 2.0, -v40
	v_fma_f32 v11, v24, 2.0, -v41
	v_fmac_f32_e32 v21, 0xbf3504f3, v28
	v_fmac_f32_e32 v42, 0xbf3504f3, v28
	v_mov_b32_e32 v44, v6
	v_sub_f32_e32 v32, v1, v15
	v_fma_f32 v4, v4, 2.0, -v35
	v_fma_f32 v9, v13, 2.0, -v38
	v_fmac_f32_e32 v21, 0x3f3504f3, v10
	v_fma_f32 v13, v19, 2.0, -v42
	v_fmac_f32_e32 v44, 0x3f3504f3, v3
	v_mov_b32_e32 v45, v26
	v_sub_f32_e32 v15, v2, v11
	v_mov_b32_e32 v11, v8
	v_fma_f32 v0, v12, 2.0, -v37
	v_fma_f32 v5, v5, 2.0, -v39
	;; [unrolled: 1-line block ×3, first 2 shown]
	v_add_f32_e32 v20, v22, v25
	v_fmac_f32_e32 v45, 0x3f3504f3, v27
	v_fmac_f32_e32 v44, 0x3f3504f3, v27
	v_mov_b32_e32 v10, v4
	v_fmac_f32_e32 v11, 0xbf6c835e, v13
	v_fma_f32 v1, v1, 2.0, -v32
	v_sub_f32_e32 v43, v23, v31
	v_fma_f32 v19, v22, 2.0, -v20
	v_fmac_f32_e32 v45, 0xbf3504f3, v3
	v_fma_f32 v3, v6, 2.0, -v44
	v_fmac_f32_e32 v10, 0xbf6c835e, v12
	v_fmac_f32_e32 v11, 0xbec3ef15, v12
	v_mov_b32_e32 v12, v0
	v_mov_b32_e32 v6, v5
	v_fma_f32 v22, v23, 2.0, -v43
	v_fma_f32 v23, v26, 2.0, -v45
	v_sub_f32_e32 v14, v1, v7
	v_fmac_f32_e32 v12, 0xbf3504f3, v19
	v_fmac_f32_e32 v6, 0xbec3ef15, v3
	v_mov_b32_e32 v7, v17
	v_fmac_f32_e32 v10, 0x3ec3ef15, v13
	v_mov_b32_e32 v13, v9
	v_fmac_f32_e32 v12, 0x3f3504f3, v22
	v_fmac_f32_e32 v7, 0xbec3ef15, v23
	;; [unrolled: 1-line block ×3, first 2 shown]
	v_fma_f32 v30, v1, 2.0, -v14
	v_fma_f32 v31, v2, 2.0, -v15
	;; [unrolled: 1-line block ×3, first 2 shown]
	v_fmac_f32_e32 v13, 0xbf3504f3, v22
	v_fma_f32 v28, v0, 2.0, -v12
	v_fmac_f32_e32 v7, 0xbf6c835e, v3
	v_fma_f32 v24, v5, 2.0, -v6
	v_mov_b32_e32 v0, v35
	v_mov_b32_e32 v1, v36
	;; [unrolled: 1-line block ×6, first 2 shown]
	v_fmac_f32_e32 v13, 0xbf3504f3, v19
	v_fmac_f32_e32 v0, 0x3ec3ef15, v21
	v_fmac_f32_e32 v1, 0x3ec3ef15, v42
	v_fmac_f32_e32 v4, 0x3f3504f3, v20
	v_fmac_f32_e32 v5, 0x3f3504f3, v43
	v_fmac_f32_e32 v2, 0x3f6c835e, v44
	v_fmac_f32_e32 v3, 0x3f6c835e, v45
	v_fma_f32 v27, v8, 2.0, -v11
	v_fma_f32 v29, v9, 2.0, -v13
	v_add_f32_e32 v8, v32, v41
	v_sub_f32_e32 v9, v16, v18
	v_fmac_f32_e32 v0, 0x3f6c835e, v42
	v_fmac_f32_e32 v1, 0xbf6c835e, v21
	;; [unrolled: 1-line block ×6, first 2 shown]
	v_fma_f32 v25, v17, 2.0, -v7
	v_fma_f32 v22, v32, 2.0, -v8
	;; [unrolled: 1-line block ×9, first 2 shown]
	s_and_saveexec_b64 s[12:13], s[2:3]
	s_cbranch_execz .LBB0_18
; %bb.17:
	v_mad_u64_u32 v[35:36], s[2:3], s10, v34, 0
	v_mad_u64_u32 v[37:38], s[2:3], s8, v33, 0
	v_mov_b32_e32 v32, v36
	v_mad_u64_u32 v[39:40], s[2:3], s11, v34, v[32:33]
	v_mov_b32_e32 v32, v38
	v_mad_u64_u32 v[40:41], s[2:3], s9, v33, v[32:33]
	s_lshl_b64 s[2:3], s[6:7], 3
	s_add_u32 s16, s14, s2
	s_addc_u32 s2, s15, s3
	v_add_u32_e32 v41, 13, v33
	v_mov_b32_e32 v36, v39
	v_mov_b32_e32 v38, v40
	;; [unrolled: 1-line block ×3, first 2 shown]
	v_mad_u64_u32 v[39:40], s[2:3], s8, v41, 0
	v_lshlrev_b64 v[35:36], 3, v[35:36]
	v_add_co_u32_e64 v42, s[2:3], s16, v35
	v_addc_co_u32_e64 v43, s[2:3], v32, v36, s[2:3]
	v_mov_b32_e32 v32, v40
	v_lshlrev_b64 v[35:36], 3, v[37:38]
	v_mad_u64_u32 v[37:38], s[2:3], s9, v41, v[32:33]
	v_add_co_u32_e64 v35, s[2:3], v42, v35
	v_addc_co_u32_e64 v36, s[2:3], v43, v36, s[2:3]
	v_mov_b32_e32 v40, v37
	global_store_dwordx2 v[35:36], v[30:31], off
	v_lshlrev_b64 v[35:36], 3, v[39:40]
	v_add_u32_e32 v39, 26, v33
	v_mad_u64_u32 v[37:38], s[2:3], s8, v39, 0
	v_add_co_u32_e64 v35, s[2:3], v42, v35
	v_mov_b32_e32 v32, v38
	v_addc_co_u32_e64 v36, s[2:3], v43, v36, s[2:3]
	v_mad_u64_u32 v[38:39], s[2:3], s9, v39, v[32:33]
	v_add_u32_e32 v41, 39, v33
	v_mad_u64_u32 v[39:40], s[2:3], s8, v41, 0
	global_store_dwordx2 v[35:36], v[26:27], off
	v_lshlrev_b64 v[35:36], 3, v[37:38]
	v_mov_b32_e32 v32, v40
	v_mad_u64_u32 v[37:38], s[2:3], s9, v41, v[32:33]
	v_add_co_u32_e64 v35, s[2:3], v42, v35
	v_addc_co_u32_e64 v36, s[2:3], v43, v36, s[2:3]
	v_mov_b32_e32 v40, v37
	global_store_dwordx2 v[35:36], v[28:29], off
	v_lshlrev_b64 v[35:36], 3, v[39:40]
	v_add_u32_e32 v39, 52, v33
	v_mad_u64_u32 v[37:38], s[2:3], s8, v39, 0
	v_add_co_u32_e64 v35, s[2:3], v42, v35
	v_mov_b32_e32 v32, v38
	v_addc_co_u32_e64 v36, s[2:3], v43, v36, s[2:3]
	v_mad_u64_u32 v[38:39], s[2:3], s9, v39, v[32:33]
	v_add_u32_e32 v41, 0x41, v33
	v_mad_u64_u32 v[39:40], s[2:3], s8, v41, 0
	global_store_dwordx2 v[35:36], v[24:25], off
	v_lshlrev_b64 v[35:36], 3, v[37:38]
	v_mov_b32_e32 v32, v40
	;; [unrolled: 17-line block ×7, first 2 shown]
	v_mad_u64_u32 v[37:38], s[2:3], s9, v41, v[32:33]
	v_add_co_u32_e64 v35, s[2:3], v42, v35
	v_addc_co_u32_e64 v36, s[2:3], v43, v36, s[2:3]
	v_mov_b32_e32 v40, v37
	global_store_dwordx2 v[35:36], v[4:5], off
	v_lshlrev_b64 v[35:36], 3, v[39:40]
	v_add_co_u32_e64 v35, s[2:3], v42, v35
	v_addc_co_u32_e64 v36, s[2:3], v43, v36, s[2:3]
	global_store_dwordx2 v[35:36], v[2:3], off
.LBB0_18:
	s_or_b64 exec, exec, s[12:13]
	s_andn2_b64 vcc, exec, vcc
	s_cbranch_vccnz .LBB0_21
; %bb.19:
	s_and_b64 s[0:1], s[4:5], s[0:1]
	s_and_saveexec_b64 s[2:3], s[0:1]
	s_cbranch_execz .LBB0_21
; %bb.20:
	v_mad_u64_u32 v[35:36], s[0:1], s10, v34, 0
	v_mad_u64_u32 v[37:38], s[0:1], s8, v33, 0
	v_mov_b32_e32 v32, v36
	v_mad_u64_u32 v[39:40], s[0:1], s11, v34, v[32:33]
	v_mov_b32_e32 v32, v38
	v_mad_u64_u32 v[40:41], s[0:1], s9, v33, v[32:33]
	s_lshl_b64 s[0:1], s[6:7], 3
	v_mov_b32_e32 v36, v39
	s_add_u32 s2, s14, s0
	s_addc_u32 s0, s15, s1
	v_lshlrev_b64 v[34:35], 3, v[35:36]
	v_add_u32_e32 v36, 13, v33
	v_mov_b32_e32 v38, v40
	v_mov_b32_e32 v32, s0
	v_mad_u64_u32 v[39:40], s[0:1], s8, v36, 0
	v_add_co_u32_e32 v41, vcc, s2, v34
	v_addc_co_u32_e32 v42, vcc, v32, v35, vcc
	v_mov_b32_e32 v32, v40
	v_lshlrev_b64 v[34:35], 3, v[37:38]
	v_mad_u64_u32 v[36:37], s[0:1], s9, v36, v[32:33]
	v_add_co_u32_e32 v34, vcc, v41, v34
	v_addc_co_u32_e32 v35, vcc, v42, v35, vcc
	v_mov_b32_e32 v40, v36
	v_add_u32_e32 v36, 26, v33
	global_store_dwordx2 v[34:35], v[30:31], off
	v_mad_u64_u32 v[34:35], s[0:1], s8, v36, 0
	v_lshlrev_b64 v[30:31], 3, v[39:40]
	v_mov_b32_e32 v32, v35
	v_mad_u64_u32 v[35:36], s[0:1], s9, v36, v[32:33]
	v_add_u32_e32 v32, 39, v33
	v_mad_u64_u32 v[36:37], s[0:1], s8, v32, 0
	v_add_co_u32_e32 v30, vcc, v41, v30
	v_addc_co_u32_e32 v31, vcc, v42, v31, vcc
	global_store_dwordx2 v[30:31], v[26:27], off
	v_mov_b32_e32 v30, v37
	v_mad_u64_u32 v[30:31], s[0:1], s9, v32, v[30:31]
	v_lshlrev_b64 v[26:27], 3, v[34:35]
	v_add_u32_e32 v32, 0x41, v33
	v_add_co_u32_e32 v26, vcc, v41, v26
	v_addc_co_u32_e32 v27, vcc, v42, v27, vcc
	v_mov_b32_e32 v37, v30
	v_add_u32_e32 v30, 52, v33
	global_store_dwordx2 v[26:27], v[28:29], off
	v_mad_u64_u32 v[28:29], s[0:1], s8, v30, 0
	v_lshlrev_b64 v[26:27], 3, v[36:37]
	v_mad_u64_u32 v[29:30], s[0:1], s9, v30, v[29:30]
	v_mad_u64_u32 v[30:31], s[0:1], s8, v32, 0
	v_add_co_u32_e32 v26, vcc, v41, v26
	v_addc_co_u32_e32 v27, vcc, v42, v27, vcc
	global_store_dwordx2 v[26:27], v[24:25], off
	v_mov_b32_e32 v26, v31
	v_mad_u64_u32 v[26:27], s[0:1], s9, v32, v[26:27]
	v_lshlrev_b64 v[24:25], 3, v[28:29]
	v_add_u32_e32 v28, 0x5b, v33
	v_add_co_u32_e32 v24, vcc, v41, v24
	v_addc_co_u32_e32 v25, vcc, v42, v25, vcc
	v_mov_b32_e32 v31, v26
	v_add_u32_e32 v26, 0x4e, v33
	global_store_dwordx2 v[24:25], v[22:23], off
	v_mad_u64_u32 v[24:25], s[0:1], s8, v26, 0
	v_lshlrev_b64 v[22:23], 3, v[30:31]
	v_mad_u64_u32 v[25:26], s[0:1], s9, v26, v[25:26]
	v_mad_u64_u32 v[26:27], s[0:1], s8, v28, 0
	v_add_co_u32_e32 v22, vcc, v41, v22
	v_addc_co_u32_e32 v23, vcc, v42, v23, vcc
	global_store_dwordx2 v[22:23], v[18:19], off
	v_mov_b32_e32 v22, v27
	v_mad_u64_u32 v[22:23], s[0:1], s9, v28, v[22:23]
	v_lshlrev_b64 v[18:19], 3, v[24:25]
	v_add_u32_e32 v24, 0x75, v33
	v_add_co_u32_e32 v18, vcc, v41, v18
	v_addc_co_u32_e32 v19, vcc, v42, v19, vcc
	v_mov_b32_e32 v27, v22
	v_add_u32_e32 v22, 0x68, v33
	global_store_dwordx2 v[18:19], v[20:21], off
	v_mad_u64_u32 v[20:21], s[0:1], s8, v22, 0
	v_lshlrev_b64 v[18:19], 3, v[26:27]
	v_mad_u64_u32 v[21:22], s[0:1], s9, v22, v[21:22]
	v_mad_u64_u32 v[22:23], s[0:1], s8, v24, 0
	v_add_co_u32_e32 v18, vcc, v41, v18
	v_addc_co_u32_e32 v19, vcc, v42, v19, vcc
	global_store_dwordx2 v[18:19], v[16:17], off
	v_mov_b32_e32 v18, v23
	v_mad_u64_u32 v[18:19], s[0:1], s9, v24, v[18:19]
	v_lshlrev_b64 v[16:17], 3, v[20:21]
	v_add_u32_e32 v20, 0x8f, v33
	v_add_co_u32_e32 v16, vcc, v41, v16
	v_addc_co_u32_e32 v17, vcc, v42, v17, vcc
	v_mov_b32_e32 v23, v18
	v_add_u32_e32 v18, 0x82, v33
	global_store_dwordx2 v[16:17], v[14:15], off
	v_mad_u64_u32 v[16:17], s[0:1], s8, v18, 0
	v_lshlrev_b64 v[14:15], 3, v[22:23]
	v_mad_u64_u32 v[17:18], s[0:1], s9, v18, v[17:18]
	v_mad_u64_u32 v[18:19], s[0:1], s8, v20, 0
	v_add_co_u32_e32 v14, vcc, v41, v14
	v_addc_co_u32_e32 v15, vcc, v42, v15, vcc
	global_store_dwordx2 v[14:15], v[10:11], off
	v_mov_b32_e32 v14, v19
	v_mad_u64_u32 v[14:15], s[0:1], s9, v20, v[14:15]
	v_lshlrev_b64 v[10:11], 3, v[16:17]
	v_add_u32_e32 v16, 0xa9, v33
	v_add_co_u32_e32 v10, vcc, v41, v10
	v_addc_co_u32_e32 v11, vcc, v42, v11, vcc
	v_mov_b32_e32 v19, v14
	v_add_u32_e32 v14, 0x9c, v33
	global_store_dwordx2 v[10:11], v[12:13], off
	v_mad_u64_u32 v[12:13], s[0:1], s8, v14, 0
	v_lshlrev_b64 v[10:11], 3, v[18:19]
	v_mad_u64_u32 v[13:14], s[0:1], s9, v14, v[13:14]
	v_mad_u64_u32 v[14:15], s[0:1], s8, v16, 0
	v_add_co_u32_e32 v10, vcc, v41, v10
	v_addc_co_u32_e32 v11, vcc, v42, v11, vcc
	global_store_dwordx2 v[10:11], v[6:7], off
	v_mov_b32_e32 v10, v15
	v_mad_u64_u32 v[10:11], s[0:1], s9, v16, v[10:11]
	v_lshlrev_b64 v[6:7], 3, v[12:13]
	v_add_u32_e32 v12, 0xc3, v33
	v_add_co_u32_e32 v6, vcc, v41, v6
	v_addc_co_u32_e32 v7, vcc, v42, v7, vcc
	v_mov_b32_e32 v15, v10
	v_add_u32_e32 v10, 0xb6, v33
	global_store_dwordx2 v[6:7], v[8:9], off
	v_mad_u64_u32 v[8:9], s[0:1], s8, v10, 0
	v_lshlrev_b64 v[6:7], 3, v[14:15]
	v_mad_u64_u32 v[9:10], s[0:1], s9, v10, v[9:10]
	v_mad_u64_u32 v[10:11], s[0:1], s8, v12, 0
	v_add_co_u32_e32 v6, vcc, v41, v6
	v_addc_co_u32_e32 v7, vcc, v42, v7, vcc
	global_store_dwordx2 v[6:7], v[0:1], off
	v_mov_b32_e32 v6, v11
	v_mad_u64_u32 v[6:7], s[0:1], s9, v12, v[6:7]
	v_lshlrev_b64 v[0:1], 3, v[8:9]
	v_add_co_u32_e32 v0, vcc, v41, v0
	v_addc_co_u32_e32 v1, vcc, v42, v1, vcc
	v_mov_b32_e32 v11, v6
	global_store_dwordx2 v[0:1], v[4:5], off
	v_lshlrev_b64 v[0:1], 3, v[10:11]
	v_add_co_u32_e32 v0, vcc, v41, v0
	v_addc_co_u32_e32 v1, vcc, v42, v1, vcc
	global_store_dwordx2 v[0:1], v[2:3], off
.LBB0_21:
	s_endpgm
	.section	.rodata,"a",@progbits
	.p2align	6, 0x0
	.amdhsa_kernel fft_rtc_back_len208_factors_13_16_wgs_144_tpt_16_sp_op_CI_CI_sbcc_dirReg
		.amdhsa_group_segment_fixed_size 0
		.amdhsa_private_segment_fixed_size 0
		.amdhsa_kernarg_size 112
		.amdhsa_user_sgpr_count 6
		.amdhsa_user_sgpr_private_segment_buffer 1
		.amdhsa_user_sgpr_dispatch_ptr 0
		.amdhsa_user_sgpr_queue_ptr 0
		.amdhsa_user_sgpr_kernarg_segment_ptr 1
		.amdhsa_user_sgpr_dispatch_id 0
		.amdhsa_user_sgpr_flat_scratch_init 0
		.amdhsa_user_sgpr_private_segment_size 0
		.amdhsa_uses_dynamic_stack 0
		.amdhsa_system_sgpr_private_segment_wavefront_offset 0
		.amdhsa_system_sgpr_workgroup_id_x 1
		.amdhsa_system_sgpr_workgroup_id_y 0
		.amdhsa_system_sgpr_workgroup_id_z 0
		.amdhsa_system_sgpr_workgroup_info 0
		.amdhsa_system_vgpr_workitem_id 0
		.amdhsa_next_free_vgpr 61
		.amdhsa_next_free_sgpr 55
		.amdhsa_reserve_vcc 1
		.amdhsa_reserve_flat_scratch 0
		.amdhsa_float_round_mode_32 0
		.amdhsa_float_round_mode_16_64 0
		.amdhsa_float_denorm_mode_32 3
		.amdhsa_float_denorm_mode_16_64 3
		.amdhsa_dx10_clamp 1
		.amdhsa_ieee_mode 1
		.amdhsa_fp16_overflow 0
		.amdhsa_exception_fp_ieee_invalid_op 0
		.amdhsa_exception_fp_denorm_src 0
		.amdhsa_exception_fp_ieee_div_zero 0
		.amdhsa_exception_fp_ieee_overflow 0
		.amdhsa_exception_fp_ieee_underflow 0
		.amdhsa_exception_fp_ieee_inexact 0
		.amdhsa_exception_int_div_zero 0
	.end_amdhsa_kernel
	.text
.Lfunc_end0:
	.size	fft_rtc_back_len208_factors_13_16_wgs_144_tpt_16_sp_op_CI_CI_sbcc_dirReg, .Lfunc_end0-fft_rtc_back_len208_factors_13_16_wgs_144_tpt_16_sp_op_CI_CI_sbcc_dirReg
                                        ; -- End function
	.section	.AMDGPU.csdata,"",@progbits
; Kernel info:
; codeLenInByte = 9040
; NumSgprs: 59
; NumVgprs: 61
; ScratchSize: 0
; MemoryBound: 0
; FloatMode: 240
; IeeeMode: 1
; LDSByteSize: 0 bytes/workgroup (compile time only)
; SGPRBlocks: 7
; VGPRBlocks: 15
; NumSGPRsForWavesPerEU: 59
; NumVGPRsForWavesPerEU: 61
; Occupancy: 4
; WaveLimiterHint : 1
; COMPUTE_PGM_RSRC2:SCRATCH_EN: 0
; COMPUTE_PGM_RSRC2:USER_SGPR: 6
; COMPUTE_PGM_RSRC2:TRAP_HANDLER: 0
; COMPUTE_PGM_RSRC2:TGID_X_EN: 1
; COMPUTE_PGM_RSRC2:TGID_Y_EN: 0
; COMPUTE_PGM_RSRC2:TGID_Z_EN: 0
; COMPUTE_PGM_RSRC2:TIDIG_COMP_CNT: 0
	.type	__hip_cuid_1dee23fe738ca710,@object ; @__hip_cuid_1dee23fe738ca710
	.section	.bss,"aw",@nobits
	.globl	__hip_cuid_1dee23fe738ca710
__hip_cuid_1dee23fe738ca710:
	.byte	0                               ; 0x0
	.size	__hip_cuid_1dee23fe738ca710, 1

	.ident	"AMD clang version 19.0.0git (https://github.com/RadeonOpenCompute/llvm-project roc-6.4.0 25133 c7fe45cf4b819c5991fe208aaa96edf142730f1d)"
	.section	".note.GNU-stack","",@progbits
	.addrsig
	.addrsig_sym __hip_cuid_1dee23fe738ca710
	.amdgpu_metadata
---
amdhsa.kernels:
  - .args:
      - .actual_access:  read_only
        .address_space:  global
        .offset:         0
        .size:           8
        .value_kind:     global_buffer
      - .address_space:  global
        .offset:         8
        .size:           8
        .value_kind:     global_buffer
      - .offset:         16
        .size:           8
        .value_kind:     by_value
      - .actual_access:  read_only
        .address_space:  global
        .offset:         24
        .size:           8
        .value_kind:     global_buffer
      - .actual_access:  read_only
        .address_space:  global
        .offset:         32
        .size:           8
        .value_kind:     global_buffer
      - .actual_access:  read_only
        .address_space:  global
        .offset:         40
        .size:           8
        .value_kind:     global_buffer
      - .offset:         48
        .size:           8
        .value_kind:     by_value
      - .actual_access:  read_only
        .address_space:  global
        .offset:         56
        .size:           8
        .value_kind:     global_buffer
      - .actual_access:  read_only
        .address_space:  global
        .offset:         64
        .size:           8
        .value_kind:     global_buffer
      - .offset:         72
        .size:           4
        .value_kind:     by_value
      - .actual_access:  read_only
        .address_space:  global
        .offset:         80
        .size:           8
        .value_kind:     global_buffer
      - .actual_access:  read_only
        .address_space:  global
        .offset:         88
        .size:           8
        .value_kind:     global_buffer
      - .actual_access:  read_only
        .address_space:  global
        .offset:         96
        .size:           8
        .value_kind:     global_buffer
      - .actual_access:  write_only
        .address_space:  global
        .offset:         104
        .size:           8
        .value_kind:     global_buffer
    .group_segment_fixed_size: 0
    .kernarg_segment_align: 8
    .kernarg_segment_size: 112
    .language:       OpenCL C
    .language_version:
      - 2
      - 0
    .max_flat_workgroup_size: 144
    .name:           fft_rtc_back_len208_factors_13_16_wgs_144_tpt_16_sp_op_CI_CI_sbcc_dirReg
    .private_segment_fixed_size: 0
    .sgpr_count:     59
    .sgpr_spill_count: 0
    .symbol:         fft_rtc_back_len208_factors_13_16_wgs_144_tpt_16_sp_op_CI_CI_sbcc_dirReg.kd
    .uniform_work_group_size: 1
    .uses_dynamic_stack: false
    .vgpr_count:     61
    .vgpr_spill_count: 0
    .wavefront_size: 64
amdhsa.target:   amdgcn-amd-amdhsa--gfx906
amdhsa.version:
  - 1
  - 2
...

	.end_amdgpu_metadata
